;; amdgpu-corpus repo=ROCm/rocFFT kind=compiled arch=gfx1030 opt=O3
	.text
	.amdgcn_target "amdgcn-amd-amdhsa--gfx1030"
	.amdhsa_code_object_version 6
	.protected	fft_rtc_fwd_len88_factors_11_8_wgs_121_tpt_11_halfLds_dp_ip_CI_unitstride_sbrr_R2C_dirReg ; -- Begin function fft_rtc_fwd_len88_factors_11_8_wgs_121_tpt_11_halfLds_dp_ip_CI_unitstride_sbrr_R2C_dirReg
	.globl	fft_rtc_fwd_len88_factors_11_8_wgs_121_tpt_11_halfLds_dp_ip_CI_unitstride_sbrr_R2C_dirReg
	.p2align	8
	.type	fft_rtc_fwd_len88_factors_11_8_wgs_121_tpt_11_halfLds_dp_ip_CI_unitstride_sbrr_R2C_dirReg,@function
fft_rtc_fwd_len88_factors_11_8_wgs_121_tpt_11_halfLds_dp_ip_CI_unitstride_sbrr_R2C_dirReg: ; @fft_rtc_fwd_len88_factors_11_8_wgs_121_tpt_11_halfLds_dp_ip_CI_unitstride_sbrr_R2C_dirReg
; %bb.0:
	s_load_dwordx4 s[8:11], s[4:5], 0x0
	v_mul_u32_u24_e32 v1, 0x1746, v0
	s_clause 0x1
	s_load_dwordx2 s[2:3], s[4:5], 0x50
	s_load_dwordx2 s[12:13], s[4:5], 0x18
	v_mov_b32_e32 v5, 0
	v_mov_b32_e32 v3, 0
	;; [unrolled: 1-line block ×3, first 2 shown]
	v_lshrrev_b32_e32 v1, 16, v1
	v_mad_u64_u32 v[1:2], null, s6, 11, v[1:2]
	v_mov_b32_e32 v2, v5
	v_mov_b32_e32 v10, v2
	;; [unrolled: 1-line block ×3, first 2 shown]
	s_waitcnt lgkmcnt(0)
	v_cmp_lt_u64_e64 s0, s[10:11], 2
	s_and_b32 vcc_lo, exec_lo, s0
	s_cbranch_vccnz .LBB0_8
; %bb.1:
	s_load_dwordx2 s[0:1], s[4:5], 0x10
	v_mov_b32_e32 v3, 0
	v_mov_b32_e32 v8, v2
	s_add_u32 s6, s12, 8
	v_mov_b32_e32 v4, 0
	v_mov_b32_e32 v7, v1
	s_addc_u32 s7, s13, 0
	s_mov_b64 s[16:17], 1
	s_waitcnt lgkmcnt(0)
	s_add_u32 s14, s0, 8
	s_addc_u32 s15, s1, 0
.LBB0_2:                                ; =>This Inner Loop Header: Depth=1
	s_load_dwordx2 s[18:19], s[14:15], 0x0
                                        ; implicit-def: $vgpr9_vgpr10
	s_mov_b32 s0, exec_lo
	s_waitcnt lgkmcnt(0)
	v_or_b32_e32 v6, s19, v8
	v_cmpx_ne_u64_e32 0, v[5:6]
	s_xor_b32 s1, exec_lo, s0
	s_cbranch_execz .LBB0_4
; %bb.3:                                ;   in Loop: Header=BB0_2 Depth=1
	v_cvt_f32_u32_e32 v2, s18
	v_cvt_f32_u32_e32 v6, s19
	s_sub_u32 s0, 0, s18
	s_subb_u32 s20, 0, s19
	v_fmac_f32_e32 v2, 0x4f800000, v6
	v_rcp_f32_e32 v2, v2
	v_mul_f32_e32 v2, 0x5f7ffffc, v2
	v_mul_f32_e32 v6, 0x2f800000, v2
	v_trunc_f32_e32 v6, v6
	v_fmac_f32_e32 v2, 0xcf800000, v6
	v_cvt_u32_f32_e32 v6, v6
	v_cvt_u32_f32_e32 v2, v2
	v_mul_lo_u32 v9, s0, v6
	v_mul_hi_u32 v10, s0, v2
	v_mul_lo_u32 v11, s20, v2
	v_add_nc_u32_e32 v9, v10, v9
	v_mul_lo_u32 v10, s0, v2
	v_add_nc_u32_e32 v9, v9, v11
	v_mul_hi_u32 v11, v2, v10
	v_mul_lo_u32 v12, v2, v9
	v_mul_hi_u32 v13, v2, v9
	v_mul_hi_u32 v14, v6, v10
	v_mul_lo_u32 v10, v6, v10
	v_mul_hi_u32 v15, v6, v9
	v_mul_lo_u32 v9, v6, v9
	v_add_co_u32 v11, vcc_lo, v11, v12
	v_add_co_ci_u32_e32 v12, vcc_lo, 0, v13, vcc_lo
	v_add_co_u32 v10, vcc_lo, v11, v10
	v_add_co_ci_u32_e32 v10, vcc_lo, v12, v14, vcc_lo
	v_add_co_ci_u32_e32 v11, vcc_lo, 0, v15, vcc_lo
	v_add_co_u32 v9, vcc_lo, v10, v9
	v_add_co_ci_u32_e32 v10, vcc_lo, 0, v11, vcc_lo
	v_add_co_u32 v2, vcc_lo, v2, v9
	v_add_co_ci_u32_e32 v6, vcc_lo, v6, v10, vcc_lo
	v_mul_hi_u32 v9, s0, v2
	v_mul_lo_u32 v11, s20, v2
	v_mul_lo_u32 v10, s0, v6
	v_add_nc_u32_e32 v9, v9, v10
	v_mul_lo_u32 v10, s0, v2
	v_add_nc_u32_e32 v9, v9, v11
	v_mul_hi_u32 v11, v2, v10
	v_mul_lo_u32 v12, v2, v9
	v_mul_hi_u32 v13, v2, v9
	v_mul_hi_u32 v14, v6, v10
	v_mul_lo_u32 v10, v6, v10
	v_mul_hi_u32 v15, v6, v9
	v_mul_lo_u32 v9, v6, v9
	v_add_co_u32 v11, vcc_lo, v11, v12
	v_add_co_ci_u32_e32 v12, vcc_lo, 0, v13, vcc_lo
	v_add_co_u32 v10, vcc_lo, v11, v10
	v_add_co_ci_u32_e32 v10, vcc_lo, v12, v14, vcc_lo
	v_add_co_ci_u32_e32 v11, vcc_lo, 0, v15, vcc_lo
	v_add_co_u32 v9, vcc_lo, v10, v9
	v_add_co_ci_u32_e32 v10, vcc_lo, 0, v11, vcc_lo
	v_add_co_u32 v2, vcc_lo, v2, v9
	v_add_co_ci_u32_e32 v6, vcc_lo, v6, v10, vcc_lo
	v_mul_hi_u32 v15, v7, v2
	v_mad_u64_u32 v[11:12], null, v8, v2, 0
	v_mad_u64_u32 v[9:10], null, v7, v6, 0
	v_mad_u64_u32 v[13:14], null, v8, v6, 0
	v_add_co_u32 v2, vcc_lo, v15, v9
	v_add_co_ci_u32_e32 v6, vcc_lo, 0, v10, vcc_lo
	v_add_co_u32 v2, vcc_lo, v2, v11
	v_add_co_ci_u32_e32 v2, vcc_lo, v6, v12, vcc_lo
	v_add_co_ci_u32_e32 v6, vcc_lo, 0, v14, vcc_lo
	v_add_co_u32 v2, vcc_lo, v2, v13
	v_add_co_ci_u32_e32 v6, vcc_lo, 0, v6, vcc_lo
	v_mul_lo_u32 v11, s19, v2
	v_mad_u64_u32 v[9:10], null, s18, v2, 0
	v_mul_lo_u32 v12, s18, v6
	v_sub_co_u32 v9, vcc_lo, v7, v9
	v_add3_u32 v10, v10, v12, v11
	v_sub_nc_u32_e32 v11, v8, v10
	v_subrev_co_ci_u32_e64 v11, s0, s19, v11, vcc_lo
	v_add_co_u32 v12, s0, v2, 2
	v_add_co_ci_u32_e64 v13, s0, 0, v6, s0
	v_sub_co_u32 v14, s0, v9, s18
	v_sub_co_ci_u32_e32 v10, vcc_lo, v8, v10, vcc_lo
	v_subrev_co_ci_u32_e64 v11, s0, 0, v11, s0
	v_cmp_le_u32_e32 vcc_lo, s18, v14
	v_cmp_eq_u32_e64 s0, s19, v10
	v_cndmask_b32_e64 v14, 0, -1, vcc_lo
	v_cmp_le_u32_e32 vcc_lo, s19, v11
	v_cndmask_b32_e64 v15, 0, -1, vcc_lo
	v_cmp_le_u32_e32 vcc_lo, s18, v9
	;; [unrolled: 2-line block ×3, first 2 shown]
	v_cndmask_b32_e64 v16, 0, -1, vcc_lo
	v_cmp_eq_u32_e32 vcc_lo, s19, v11
	v_cndmask_b32_e64 v9, v16, v9, s0
	v_cndmask_b32_e32 v11, v15, v14, vcc_lo
	v_add_co_u32 v14, vcc_lo, v2, 1
	v_add_co_ci_u32_e32 v15, vcc_lo, 0, v6, vcc_lo
	v_cmp_ne_u32_e32 vcc_lo, 0, v11
	v_cndmask_b32_e32 v10, v15, v13, vcc_lo
	v_cndmask_b32_e32 v11, v14, v12, vcc_lo
	v_cmp_ne_u32_e32 vcc_lo, 0, v9
	v_cndmask_b32_e32 v10, v6, v10, vcc_lo
	v_cndmask_b32_e32 v9, v2, v11, vcc_lo
.LBB0_4:                                ;   in Loop: Header=BB0_2 Depth=1
	s_andn2_saveexec_b32 s0, s1
	s_cbranch_execz .LBB0_6
; %bb.5:                                ;   in Loop: Header=BB0_2 Depth=1
	v_cvt_f32_u32_e32 v2, s18
	s_sub_i32 s1, 0, s18
	v_rcp_iflag_f32_e32 v2, v2
	v_mul_f32_e32 v2, 0x4f7ffffe, v2
	v_cvt_u32_f32_e32 v2, v2
	v_mul_lo_u32 v6, s1, v2
	v_mul_hi_u32 v6, v2, v6
	v_add_nc_u32_e32 v2, v2, v6
	v_mul_hi_u32 v2, v7, v2
	v_mul_lo_u32 v6, v2, s18
	v_add_nc_u32_e32 v9, 1, v2
	v_sub_nc_u32_e32 v6, v7, v6
	v_subrev_nc_u32_e32 v10, s18, v6
	v_cmp_le_u32_e32 vcc_lo, s18, v6
	v_cndmask_b32_e32 v6, v6, v10, vcc_lo
	v_cndmask_b32_e32 v2, v2, v9, vcc_lo
	v_mov_b32_e32 v10, v5
	v_cmp_le_u32_e32 vcc_lo, s18, v6
	v_add_nc_u32_e32 v9, 1, v2
	v_cndmask_b32_e32 v9, v2, v9, vcc_lo
.LBB0_6:                                ;   in Loop: Header=BB0_2 Depth=1
	s_or_b32 exec_lo, exec_lo, s0
	s_load_dwordx2 s[0:1], s[6:7], 0x0
	v_mul_lo_u32 v2, v10, s18
	v_mul_lo_u32 v6, v9, s19
	v_mad_u64_u32 v[11:12], null, v9, s18, 0
	s_add_u32 s16, s16, 1
	s_addc_u32 s17, s17, 0
	s_add_u32 s6, s6, 8
	s_addc_u32 s7, s7, 0
	;; [unrolled: 2-line block ×3, first 2 shown]
	v_add3_u32 v2, v12, v6, v2
	v_sub_co_u32 v6, vcc_lo, v7, v11
	v_sub_co_ci_u32_e32 v2, vcc_lo, v8, v2, vcc_lo
	s_waitcnt lgkmcnt(0)
	v_mul_lo_u32 v7, s1, v6
	v_mul_lo_u32 v2, s0, v2
	v_mad_u64_u32 v[3:4], null, s0, v6, v[3:4]
	v_cmp_ge_u64_e64 s0, s[16:17], s[10:11]
	s_and_b32 vcc_lo, exec_lo, s0
	v_add3_u32 v4, v7, v4, v2
	s_cbranch_vccnz .LBB0_8
; %bb.7:                                ;   in Loop: Header=BB0_2 Depth=1
	v_mov_b32_e32 v7, v9
	v_mov_b32_e32 v8, v10
	s_branch .LBB0_2
.LBB0_8:
	s_lshl_b64 s[0:1], s[10:11], 3
	v_mul_hi_u32 v2, 0xba2e8ba3, v1
	s_add_u32 s0, s12, s0
	s_addc_u32 s1, s13, s1
	s_load_dwordx2 s[4:5], s[4:5], 0x20
	s_load_dwordx2 s[0:1], s[0:1], 0x0
	v_mul_hi_u32 v5, 0x1745d175, v0
	v_lshrrev_b32_e32 v2, 3, v2
	v_mul_lo_u32 v6, v2, 11
	v_sub_nc_u32_e32 v1, v1, v6
	s_waitcnt lgkmcnt(0)
	v_cmp_gt_u64_e32 vcc_lo, s[4:5], v[9:10]
	v_mul_lo_u32 v7, s0, v10
	v_mul_lo_u32 v8, s1, v9
	v_mad_u64_u32 v[2:3], null, s0, v9, v[3:4]
	v_mul_u32_u24_e32 v4, 11, v5
	v_mul_u32_u24_e32 v1, 0x59, v1
	v_sub_nc_u32_e32 v44, v0, v4
	v_add3_u32 v3, v8, v3, v7
	v_lshlrev_b32_e32 v63, 4, v1
	v_lshlrev_b32_e32 v61, 4, v44
	v_lshlrev_b64 v[46:47], 4, v[2:3]
	s_and_saveexec_b32 s1, vcc_lo
	s_cbranch_execz .LBB0_10
; %bb.9:
	v_mov_b32_e32 v45, 0
	v_add_co_u32 v2, s0, s2, v46
	v_add_co_ci_u32_e64 v3, s0, s3, v47, s0
	v_lshlrev_b64 v[0:1], 4, v[44:45]
	v_add3_u32 v32, 0, v63, v61
	v_add_co_u32 v28, s0, v2, v0
	v_add_co_ci_u32_e64 v29, s0, v3, v1, s0
	s_clause 0x7
	global_load_dwordx4 v[0:3], v[28:29], off
	global_load_dwordx4 v[4:7], v[28:29], off offset:176
	global_load_dwordx4 v[8:11], v[28:29], off offset:352
	;; [unrolled: 1-line block ×7, first 2 shown]
	s_waitcnt vmcnt(7)
	ds_write_b128 v32, v[0:3]
	s_waitcnt vmcnt(6)
	ds_write_b128 v32, v[4:7] offset:176
	s_waitcnt vmcnt(5)
	ds_write_b128 v32, v[8:11] offset:352
	s_waitcnt vmcnt(4)
	ds_write_b128 v32, v[12:15] offset:528
	s_waitcnt vmcnt(3)
	ds_write_b128 v32, v[16:19] offset:704
	s_waitcnt vmcnt(2)
	ds_write_b128 v32, v[20:23] offset:880
	s_waitcnt vmcnt(1)
	ds_write_b128 v32, v[24:27] offset:1056
	s_waitcnt vmcnt(0)
	ds_write_b128 v32, v[28:31] offset:1232
.LBB0_10:
	s_or_b32 exec_lo, exec_lo, s1
	v_add_nc_u32_e32 v45, 0, v63
	v_add_nc_u32_e32 v64, 0, v61
	s_waitcnt lgkmcnt(0)
	s_barrier
	buffer_gl0_inv
	v_add_nc_u32_e32 v60, v45, v61
	v_add_nc_u32_e32 v62, v64, v63
	s_mov_b32 s33, exec_lo
	ds_read_b128 v[4:7], v60
	ds_read_b128 v[28:31], v62 offset:128
	ds_read_b128 v[32:35], v62 offset:256
	;; [unrolled: 1-line block ×10, first 2 shown]
	s_waitcnt lgkmcnt(0)
	s_barrier
	buffer_gl0_inv
	v_cmpx_gt_u32_e32 8, v44
	s_cbranch_execz .LBB0_12
; %bb.11:
	v_add_f64 v[48:49], v[6:7], v[30:31]
	v_add_f64 v[50:51], v[4:5], v[28:29]
	;; [unrolled: 1-line block ×3, first 2 shown]
	v_add_f64 v[54:55], v[38:39], -v[26:27]
	v_add_f64 v[69:70], v[30:31], v[2:3]
	v_add_f64 v[71:72], v[30:31], -v[2:3]
	s_mov_b32 s0, 0x9bcd5057
	s_mov_b32 s4, 0xfd768dbf
	;; [unrolled: 1-line block ×12, first 2 shown]
	v_add_f64 v[58:59], v[42:43], v[18:19]
	v_add_f64 v[56:57], v[40:41], -v[16:17]
	v_add_f64 v[30:31], v[40:41], v[16:17]
	v_add_f64 v[75:76], v[34:35], v[10:11]
	;; [unrolled: 1-line block ×4, first 2 shown]
	v_add_f64 v[34:35], v[34:35], -v[10:11]
	s_mov_b32 s6, 0x8764f0ba
	v_mul_f64 v[77:78], v[69:70], s[14:15]
	s_mov_b32 s10, 0xf8bb580b
	s_mov_b32 s22, 0x640f44db
	;; [unrolled: 1-line block ×11, first 2 shown]
	v_add_f64 v[73:74], v[22:23], v[14:15]
	v_mul_f64 v[85:86], v[69:70], s[22:23]
	v_mul_f64 v[87:88], v[71:72], s[24:25]
	s_mov_b32 s28, 0xd9c712b6
	s_mov_b32 s34, 0x8eee2c13
	v_mul_f64 v[81:82], v[75:76], s[22:23]
	v_add_f64 v[48:49], v[48:49], v[22:23]
	v_add_f64 v[50:51], v[50:51], v[20:21]
	v_add_f64 v[22:23], v[22:23], -v[14:15]
	v_mul_f64 v[79:80], v[34:35], s[16:17]
	v_mul_f64 v[83:84], v[34:35], s[26:27]
	;; [unrolled: 1-line block ×4, first 2 shown]
	s_mov_b32 s29, 0x3fda9628
	s_mov_b32 s35, 0xbfed1bb4
	;; [unrolled: 1-line block ×4, first 2 shown]
	v_mul_f64 v[125:126], v[69:70], s[28:29]
	v_mul_f64 v[113:114], v[58:59], s[0:1]
	;; [unrolled: 1-line block ×5, first 2 shown]
	v_add_f64 v[65:66], v[48:49], v[42:43]
	v_add_f64 v[67:68], v[50:51], v[40:41]
	v_add_f64 v[50:51], v[36:37], -v[24:25]
	v_add_f64 v[48:49], v[36:37], v[24:25]
	v_add_f64 v[40:41], v[42:43], -v[18:19]
	v_add_f64 v[42:43], v[32:33], -v[8:9]
	v_add_f64 v[32:33], v[32:33], v[8:9]
	v_mul_f64 v[99:100], v[22:23], s[20:21]
	v_mul_f64 v[103:104], v[22:23], s[10:11]
	;; [unrolled: 1-line block ×3, first 2 shown]
	v_add_f64 v[38:39], v[65:66], v[38:39]
	v_add_f64 v[36:37], v[67:68], v[36:37]
	v_add_f64 v[65:66], v[28:29], -v[0:1]
	v_add_f64 v[28:29], v[28:29], v[0:1]
	v_add_f64 v[67:68], v[20:21], -v[12:13]
	v_add_f64 v[20:21], v[20:21], v[12:13]
	v_fma_f64 v[117:118], v[32:33], s[6:7], v[79:80]
	v_fma_f64 v[79:80], v[32:33], s[6:7], -v[79:80]
	v_mul_f64 v[123:124], v[40:41], s[12:13]
	v_fma_f64 v[127:128], v[42:43], s[24:25], v[81:82]
	v_mul_f64 v[111:112], v[40:41], s[30:31]
	v_add_f64 v[26:27], v[38:39], v[26:27]
	v_add_f64 v[24:25], v[36:37], v[24:25]
	v_mul_f64 v[36:37], v[69:70], s[0:1]
	v_mul_f64 v[38:39], v[71:72], s[12:13]
	v_fma_f64 v[109:110], v[65:66], s[18:19], v[77:78]
	v_fma_f64 v[77:78], v[65:66], s[20:21], v[77:78]
	;; [unrolled: 1-line block ×3, first 2 shown]
	v_fma_f64 v[121:122], v[28:29], s[22:23], -v[87:88]
	v_mul_f64 v[69:70], v[69:70], s[6:7]
	v_add_f64 v[18:19], v[26:27], v[18:19]
	v_add_f64 v[16:17], v[24:25], v[16:17]
	v_mul_f64 v[26:27], v[71:72], s[20:21]
	v_mul_f64 v[24:25], v[75:76], s[6:7]
	v_fma_f64 v[89:90], v[65:66], s[4:5], v[36:37]
	v_fma_f64 v[97:98], v[28:29], s[0:1], v[38:39]
	;; [unrolled: 1-line block ×3, first 2 shown]
	v_fma_f64 v[38:39], v[28:29], s[0:1], -v[38:39]
	v_add_f64 v[77:78], v[6:7], v[77:78]
	v_add_f64 v[109:110], v[6:7], v[109:110]
	;; [unrolled: 1-line block ×6, first 2 shown]
	v_fma_f64 v[18:19], v[28:29], s[14:15], v[26:27]
	v_fma_f64 v[26:27], v[28:29], s[14:15], -v[26:27]
	v_fma_f64 v[115:116], v[42:43], s[10:11], v[24:25]
	v_add_f64 v[89:90], v[6:7], v[89:90]
	v_add_f64 v[97:98], v[4:5], v[97:98]
	v_fma_f64 v[24:25], v[42:43], s[16:17], v[24:25]
	v_add_f64 v[36:37], v[6:7], v[36:37]
	v_add_f64 v[38:39], v[4:5], v[38:39]
	v_mul_f64 v[16:17], v[58:59], s[28:29]
	v_add_f64 v[109:110], v[127:128], v[109:110]
	v_mul_f64 v[127:128], v[75:76], s[14:15]
	v_mul_f64 v[75:76], v[75:76], s[28:29]
	v_add_f64 v[10:11], v[14:15], v[10:11]
	v_add_f64 v[8:9], v[12:13], v[8:9]
	v_fma_f64 v[12:13], v[32:33], s[22:23], v[83:84]
	v_add_f64 v[14:15], v[4:5], v[18:19]
	v_fma_f64 v[18:19], v[42:43], s[26:27], v[81:82]
	v_fma_f64 v[81:82], v[32:33], s[22:23], -v[83:84]
	v_add_f64 v[26:27], v[4:5], v[26:27]
	v_fma_f64 v[83:84], v[42:43], s[4:5], v[93:94]
	v_add_f64 v[89:90], v[115:116], v[89:90]
	v_fma_f64 v[115:116], v[32:33], s[0:1], -v[95:96]
	v_add_f64 v[97:98], v[117:118], v[97:98]
	v_add_f64 v[24:25], v[24:25], v[36:37]
	v_fma_f64 v[36:37], v[20:21], s[14:15], v[99:100]
	v_fma_f64 v[117:118], v[67:68], s[18:19], v[91:92]
	v_add_f64 v[38:39], v[79:80], v[38:39]
	v_mul_f64 v[79:80], v[71:72], s[34:35]
	v_fma_f64 v[91:92], v[67:68], s[20:21], v[91:92]
	v_fma_f64 v[99:100], v[20:21], s[14:15], -v[99:100]
	v_mul_f64 v[71:72], v[71:72], s[10:11]
	v_fma_f64 v[93:94], v[42:43], s[12:13], v[93:94]
	v_fma_f64 v[95:96], v[32:33], s[0:1], v[95:96]
	v_add_f64 v[2:3], v[10:11], v[2:3]
	v_add_f64 v[0:1], v[8:9], v[0:1]
	v_add_f64 v[12:13], v[12:13], v[14:15]
	v_add_f64 v[18:19], v[18:19], v[77:78]
	v_fma_f64 v[77:78], v[20:21], s[6:7], v[103:104]
	v_fma_f64 v[14:15], v[67:68], s[16:17], v[101:102]
	v_add_f64 v[26:27], v[81:82], v[26:27]
	v_fma_f64 v[101:102], v[67:68], s[10:11], v[101:102]
	v_fma_f64 v[103:104], v[20:21], s[6:7], -v[103:104]
	v_add_f64 v[83:84], v[83:84], v[119:120]
	v_fma_f64 v[119:120], v[67:68], s[30:31], v[105:106]
	v_add_f64 v[115:116], v[115:116], v[121:122]
	v_fma_f64 v[121:122], v[20:21], s[28:29], -v[107:108]
	v_add_f64 v[36:37], v[36:37], v[97:98]
	v_fma_f64 v[97:98], v[65:66], s[34:35], v[125:126]
	v_mul_f64 v[81:82], v[34:35], s[20:21]
	v_add_f64 v[89:90], v[117:118], v[89:90]
	v_fma_f64 v[117:118], v[56:57], s[34:35], v[16:17]
	v_add_f64 v[24:25], v[91:92], v[24:25]
	v_add_f64 v[38:39], v[99:100], v[38:39]
	v_fma_f64 v[99:100], v[30:31], s[28:29], v[111:112]
	v_fma_f64 v[16:17], v[56:57], s[30:31], v[16:17]
	v_fma_f64 v[111:112], v[30:31], s[28:29], -v[111:112]
	v_mul_f64 v[34:35], v[34:35], s[34:35]
	v_fma_f64 v[91:92], v[28:29], s[28:29], -v[79:80]
	v_add_f64 v[12:13], v[77:78], v[12:13]
	v_fma_f64 v[77:78], v[30:31], s[0:1], v[123:124]
	v_add_f64 v[14:15], v[14:15], v[109:110]
	v_fma_f64 v[109:110], v[56:57], s[4:5], v[113:114]
	v_fma_f64 v[113:114], v[56:57], s[12:13], v[113:114]
	v_add_f64 v[18:19], v[101:102], v[18:19]
	v_mul_f64 v[101:102], v[73:74], s[0:1]
	v_add_f64 v[26:27], v[103:104], v[26:27]
	v_fma_f64 v[103:104], v[65:66], s[10:11], v[69:70]
	v_add_f64 v[83:84], v[119:120], v[83:84]
	v_fma_f64 v[119:120], v[28:29], s[6:7], -v[71:72]
	v_add_f64 v[115:116], v[121:122], v[115:116]
	v_fma_f64 v[121:122], v[42:43], s[20:21], v[127:128]
	v_add_f64 v[97:98], v[6:7], v[97:98]
	v_add_f64 v[89:90], v[117:118], v[89:90]
	v_fma_f64 v[117:118], v[32:33], s[14:15], -v[81:82]
	v_add_f64 v[36:37], v[99:100], v[36:37]
	v_mul_f64 v[99:100], v[22:23], s[4:5]
	v_add_f64 v[16:17], v[16:17], v[24:25]
	v_mul_f64 v[24:25], v[58:59], s[6:7]
	v_add_f64 v[38:39], v[111:112], v[38:39]
	v_fma_f64 v[111:112], v[30:31], s[0:1], -v[123:124]
	v_fma_f64 v[123:124], v[42:43], s[34:35], v[75:76]
	v_add_f64 v[12:13], v[77:78], v[12:13]
	v_fma_f64 v[77:78], v[65:66], s[26:27], v[85:86]
	v_fma_f64 v[85:86], v[28:29], s[22:23], v[87:88]
	;; [unrolled: 1-line block ×6, first 2 shown]
	v_add_f64 v[14:15], v[109:110], v[14:15]
	v_add_f64 v[18:19], v[113:114], v[18:19]
	v_mul_f64 v[79:80], v[40:41], s[10:11]
	v_add_f64 v[103:104], v[6:7], v[103:104]
	v_add_f64 v[109:110], v[4:5], v[119:120]
	;; [unrolled: 1-line block ×3, first 2 shown]
	v_fma_f64 v[113:114], v[67:68], s[4:5], v[101:102]
	v_mul_f64 v[119:120], v[58:59], s[22:23]
	v_mul_f64 v[73:74], v[73:74], s[22:23]
	v_fma_f64 v[125:126], v[32:33], s[28:29], -v[34:35]
	v_mul_f64 v[22:23], v[22:23], s[24:25]
	v_fma_f64 v[127:128], v[42:43], s[18:19], v[127:128]
	v_fma_f64 v[81:82], v[32:33], s[14:15], v[81:82]
	v_add_f64 v[91:92], v[4:5], v[91:92]
	v_fma_f64 v[42:43], v[42:43], s[30:31], v[75:76]
	v_fma_f64 v[32:33], v[32:33], s[28:29], v[34:35]
	v_add_f64 v[77:78], v[6:7], v[77:78]
	v_add_f64 v[85:86], v[4:5], v[85:86]
	;; [unrolled: 1-line block ×6, first 2 shown]
	v_mul_f64 v[121:122], v[40:41], s[26:27]
	v_fma_f64 v[71:72], v[56:57], s[10:11], v[24:25]
	v_add_f64 v[111:112], v[111:112], v[26:27]
	v_fma_f64 v[26:27], v[30:31], s[6:7], -v[79:80]
	v_add_f64 v[103:104], v[123:124], v[103:104]
	v_mul_f64 v[58:59], v[58:59], s[14:15]
	v_add_f64 v[97:98], v[113:114], v[97:98]
	v_fma_f64 v[113:114], v[56:57], s[26:27], v[119:120]
	v_fma_f64 v[123:124], v[67:68], s[24:25], v[73:74]
	v_add_f64 v[109:110], v[125:126], v[109:110]
	v_fma_f64 v[75:76], v[20:21], s[22:23], -v[22:23]
	v_mul_f64 v[40:41], v[40:41], s[20:21]
	v_mul_f64 v[125:126], v[52:53], s[22:23]
	v_add_f64 v[91:92], v[117:118], v[91:92]
	v_fma_f64 v[117:118], v[20:21], s[0:1], -v[99:100]
	v_fma_f64 v[24:25], v[56:57], s[16:17], v[24:25]
	v_add_f64 v[28:29], v[93:94], v[77:78]
	v_add_f64 v[65:66], v[95:96], v[85:86]
	;; [unrolled: 1-line block ×3, first 2 shown]
	v_fma_f64 v[77:78], v[67:68], s[34:35], v[105:106]
	v_add_f64 v[69:70], v[81:82], v[69:70]
	v_fma_f64 v[81:82], v[20:21], s[28:29], v[107:108]
	v_fma_f64 v[85:86], v[67:68], s[12:13], v[101:102]
	;; [unrolled: 1-line block ×4, first 2 shown]
	v_add_f64 v[6:7], v[42:43], v[6:7]
	v_fma_f64 v[20:21], v[20:21], s[22:23], v[22:23]
	v_add_f64 v[4:5], v[32:33], v[4:5]
	v_add_f64 v[71:72], v[71:72], v[83:84]
	;; [unrolled: 1-line block ×6, first 2 shown]
	v_mul_f64 v[42:43], v[52:53], s[28:29]
	v_mul_f64 v[32:33], v[52:53], s[14:15]
	v_fma_f64 v[79:80], v[30:31], s[6:7], v[79:80]
	v_fma_f64 v[97:98], v[56:57], s[24:25], v[119:120]
	v_add_f64 v[91:92], v[117:118], v[91:92]
	v_fma_f64 v[117:118], v[30:31], s[22:23], -v[121:122]
	v_mul_f64 v[73:74], v[54:55], s[24:25]
	v_mul_f64 v[22:23], v[54:55], s[30:31]
	v_add_f64 v[28:29], v[77:78], v[28:29]
	v_mul_f64 v[77:78], v[54:55], s[20:21]
	v_add_f64 v[65:66], v[81:82], v[65:66]
	v_fma_f64 v[81:82], v[56:57], s[20:21], v[58:59]
	v_add_f64 v[34:35], v[85:86], v[34:35]
	v_fma_f64 v[85:86], v[30:31], s[14:15], -v[40:41]
	v_add_f64 v[69:70], v[87:88], v[69:70]
	v_mul_f64 v[87:88], v[52:53], s[6:7]
	v_mul_f64 v[52:53], v[52:53], s[0:1]
	v_fma_f64 v[56:57], v[56:57], s[18:19], v[58:59]
	v_mul_f64 v[58:59], v[54:55], s[12:13]
	v_mul_f64 v[54:55], v[54:55], s[16:17]
	v_fma_f64 v[99:100], v[30:31], s[22:23], v[121:122]
	v_add_f64 v[6:7], v[67:68], v[6:7]
	v_fma_f64 v[30:31], v[30:31], s[14:15], v[40:41]
	v_add_f64 v[4:5], v[20:21], v[4:5]
	v_fma_f64 v[101:102], v[50:51], s[24:25], v[125:126]
	v_fma_f64 v[40:41], v[50:51], s[34:35], v[42:43]
	;; [unrolled: 1-line block ×3, first 2 shown]
	v_add_f64 v[91:92], v[117:118], v[91:92]
	v_fma_f64 v[67:68], v[48:49], s[22:23], v[73:74]
	v_fma_f64 v[20:21], v[48:49], s[28:29], v[22:23]
	v_fma_f64 v[103:104], v[48:49], s[28:29], -v[22:23]
	v_fma_f64 v[22:23], v[50:51], s[20:21], v[32:33]
	v_add_f64 v[65:66], v[79:80], v[65:66]
	v_add_f64 v[81:82], v[81:82], v[93:94]
	;; [unrolled: 1-line block ×5, first 2 shown]
	v_fma_f64 v[24:25], v[50:51], s[16:17], v[87:88]
	v_fma_f64 v[28:29], v[50:51], s[12:13], v[52:53]
	v_fma_f64 v[85:86], v[48:49], s[14:15], -v[77:78]
	v_fma_f64 v[34:35], v[48:49], s[0:1], -v[58:59]
	;; [unrolled: 1-line block ×4, first 2 shown]
	v_fma_f64 v[95:96], v[50:51], s[26:27], v[125:126]
	v_fma_f64 v[32:33], v[50:51], s[18:19], v[32:33]
	;; [unrolled: 1-line block ×5, first 2 shown]
	v_add_f64 v[69:70], v[99:100], v[69:70]
	v_fma_f64 v[54:55], v[48:49], s[6:7], v[54:55]
	v_add_f64 v[56:57], v[56:57], v[6:7]
	v_fma_f64 v[48:49], v[48:49], s[0:1], v[58:59]
	v_add_f64 v[58:59], v[30:31], v[4:5]
	v_add_f64 v[12:13], v[20:21], v[12:13]
	;; [unrolled: 1-line block ×21, first 2 shown]
	v_mul_u32_u24_e32 v48, 0xa0, v44
	v_add3_u32 v48, v64, v48, v63
	ds_write_b128 v48, v[0:3]
	ds_write_b128 v48, v[28:31] offset:16
	ds_write_b128 v48, v[24:27] offset:32
	;; [unrolled: 1-line block ×10, first 2 shown]
.LBB0_12:
	s_or_b32 exec_lo, exec_lo, s33
	v_mul_u32_u24_e32 v0, 7, v44
	s_waitcnt lgkmcnt(0)
	s_barrier
	buffer_gl0_inv
	s_mov_b32 s0, 0x667f3bcd
	v_lshlrev_b32_e32 v24, 4, v0
	s_mov_b32 s1, 0xbfe6a09e
	s_mov_b32 s5, 0x3fe6a09e
	s_mov_b32 s4, s0
	s_clause 0x6
	global_load_dwordx4 v[0:3], v24, s[8:9]
	global_load_dwordx4 v[4:7], v24, s[8:9] offset:16
	global_load_dwordx4 v[8:11], v24, s[8:9] offset:48
	;; [unrolled: 1-line block ×6, first 2 shown]
	ds_read_b128 v[28:31], v62 offset:176
	ds_read_b128 v[32:35], v62 offset:352
	;; [unrolled: 1-line block ×7, first 2 shown]
	ds_read_b128 v[63:66], v60
	s_waitcnt vmcnt(0) lgkmcnt(0)
	s_barrier
	buffer_gl0_inv
	v_mul_f64 v[67:68], v[30:31], v[2:3]
	v_mul_f64 v[2:3], v[28:29], v[2:3]
	v_mul_f64 v[69:70], v[34:35], v[6:7]
	v_mul_f64 v[6:7], v[32:33], v[6:7]
	v_mul_f64 v[71:72], v[38:39], v[10:11]
	v_mul_f64 v[10:11], v[36:37], v[10:11]
	v_mul_f64 v[73:74], v[42:43], v[14:15]
	v_mul_f64 v[14:15], v[40:41], v[14:15]
	v_mul_f64 v[75:76], v[50:51], v[18:19]
	v_mul_f64 v[18:19], v[48:49], v[18:19]
	v_mul_f64 v[77:78], v[54:55], v[22:23]
	v_mul_f64 v[22:23], v[52:53], v[22:23]
	v_mul_f64 v[79:80], v[58:59], v[26:27]
	v_mul_f64 v[26:27], v[56:57], v[26:27]
	v_fma_f64 v[28:29], v[28:29], v[0:1], -v[67:68]
	v_fma_f64 v[0:1], v[30:31], v[0:1], v[2:3]
	v_fma_f64 v[2:3], v[32:33], v[4:5], -v[69:70]
	v_fma_f64 v[4:5], v[34:35], v[4:5], v[6:7]
	;; [unrolled: 2-line block ×7, first 2 shown]
	v_add_f64 v[6:7], v[63:64], -v[6:7]
	v_add_f64 v[8:9], v[65:66], -v[8:9]
	v_add_f64 v[10:11], v[2:3], -v[10:11]
	v_add_f64 v[12:13], v[4:5], -v[12:13]
	v_add_f64 v[14:15], v[28:29], -v[14:15]
	v_add_f64 v[16:17], v[0:1], -v[16:17]
	v_add_f64 v[22:23], v[18:19], -v[22:23]
	v_add_f64 v[24:25], v[20:21], -v[24:25]
	v_fma_f64 v[26:27], v[63:64], 2.0, -v[6:7]
	v_fma_f64 v[30:31], v[65:66], 2.0, -v[8:9]
	;; [unrolled: 1-line block ×6, first 2 shown]
	v_add_f64 v[32:33], v[6:7], -v[12:13]
	v_add_f64 v[34:35], v[8:9], v[10:11]
	v_fma_f64 v[10:11], v[18:19], 2.0, -v[22:23]
	v_fma_f64 v[12:13], v[20:21], 2.0, -v[24:25]
	v_add_f64 v[18:19], v[14:15], -v[24:25]
	v_add_f64 v[20:21], v[16:17], v[22:23]
	v_add_f64 v[22:23], v[26:27], -v[2:3]
	v_add_f64 v[24:25], v[30:31], -v[4:5]
	v_fma_f64 v[36:37], v[6:7], 2.0, -v[32:33]
	v_fma_f64 v[38:39], v[8:9], 2.0, -v[34:35]
	v_add_f64 v[2:3], v[28:29], -v[10:11]
	v_add_f64 v[4:5], v[0:1], -v[12:13]
	v_fma_f64 v[14:15], v[14:15], 2.0, -v[18:19]
	v_fma_f64 v[12:13], v[16:17], 2.0, -v[20:21]
	v_fma_f64 v[6:7], v[18:19], s[4:5], v[32:33]
	v_fma_f64 v[8:9], v[20:21], s[4:5], v[34:35]
	v_fma_f64 v[26:27], v[26:27], 2.0, -v[22:23]
	v_fma_f64 v[30:31], v[30:31], 2.0, -v[24:25]
	;; [unrolled: 1-line block ×4, first 2 shown]
	v_fma_f64 v[28:29], v[14:15], s[0:1], v[36:37]
	v_fma_f64 v[40:41], v[12:13], s[0:1], v[38:39]
	v_add_f64 v[0:1], v[22:23], -v[4:5]
	v_add_f64 v[2:3], v[24:25], v[2:3]
	v_fma_f64 v[4:5], v[20:21], s[0:1], v[6:7]
	v_fma_f64 v[6:7], v[18:19], s[4:5], v[8:9]
	v_add_f64 v[8:9], v[26:27], -v[10:11]
	v_add_f64 v[10:11], v[30:31], -v[16:17]
	v_fma_f64 v[12:13], v[12:13], s[0:1], v[28:29]
	v_fma_f64 v[14:15], v[14:15], s[4:5], v[40:41]
	v_fma_f64 v[16:17], v[22:23], 2.0, -v[0:1]
	v_fma_f64 v[18:19], v[24:25], 2.0, -v[2:3]
	;; [unrolled: 1-line block ×4, first 2 shown]
	s_mov_b32 s1, exec_lo
	v_fma_f64 v[24:25], v[26:27], 2.0, -v[8:9]
	v_fma_f64 v[26:27], v[30:31], 2.0, -v[10:11]
	;; [unrolled: 1-line block ×4, first 2 shown]
	ds_write_b128 v62, v[0:3] offset:1056
	ds_write_b128 v62, v[4:7] offset:1232
	;; [unrolled: 1-line block ×6, first 2 shown]
	ds_write_b128 v62, v[24:27]
	ds_write_b128 v62, v[28:31] offset:176
	s_waitcnt lgkmcnt(0)
	s_barrier
	buffer_gl0_inv
	ds_read_b128 v[4:7], v60
	v_sub_nc_u32_e32 v14, v45, v61
                                        ; implicit-def: $vgpr0_vgpr1
                                        ; implicit-def: $vgpr8_vgpr9
                                        ; implicit-def: $vgpr10_vgpr11
                                        ; implicit-def: $vgpr12_vgpr13
	v_cmpx_ne_u32_e32 0, v44
	s_xor_b32 s1, exec_lo, s1
	s_cbranch_execz .LBB0_14
; %bb.13:
	v_mov_b32_e32 v45, 0
	v_lshlrev_b64 v[0:1], 4, v[44:45]
	v_add_co_u32 v0, s0, s8, v0
	v_add_co_ci_u32_e64 v1, s0, s9, v1, s0
	global_load_dwordx4 v[15:18], v[0:1], off offset:1232
	ds_read_b128 v[0:3], v14 offset:1408
	s_waitcnt lgkmcnt(0)
	v_add_f64 v[8:9], v[4:5], -v[0:1]
	v_add_f64 v[10:11], v[6:7], v[2:3]
	v_add_f64 v[2:3], v[6:7], -v[2:3]
	v_add_f64 v[0:1], v[4:5], v[0:1]
	v_mul_f64 v[6:7], v[8:9], 0.5
	v_mul_f64 v[4:5], v[10:11], 0.5
	;; [unrolled: 1-line block ×3, first 2 shown]
	s_waitcnt vmcnt(0)
	v_mul_f64 v[8:9], v[6:7], v[17:18]
	v_fma_f64 v[10:11], v[4:5], v[17:18], v[2:3]
	v_fma_f64 v[2:3], v[4:5], v[17:18], -v[2:3]
	v_fma_f64 v[12:13], v[0:1], 0.5, v[8:9]
	v_fma_f64 v[0:1], v[0:1], 0.5, -v[8:9]
	v_fma_f64 v[10:11], -v[15:16], v[6:7], v[10:11]
	v_fma_f64 v[2:3], -v[15:16], v[6:7], v[2:3]
	v_fma_f64 v[8:9], v[4:5], v[15:16], v[12:13]
	v_mov_b32_e32 v12, v44
	v_fma_f64 v[0:1], -v[4:5], v[15:16], v[0:1]
	v_mov_b32_e32 v13, v45
                                        ; implicit-def: $vgpr4_vgpr5
                                        ; implicit-def: $vgpr45
.LBB0_14:
	s_andn2_saveexec_b32 s0, s1
	s_cbranch_execz .LBB0_16
; %bb.15:
	ds_read_b64 v[15:16], v45 offset:712
	s_waitcnt lgkmcnt(1)
	v_add_f64 v[8:9], v[4:5], v[6:7]
	v_add_f64 v[0:1], v[4:5], -v[6:7]
	v_mov_b32_e32 v10, 0
	v_mov_b32_e32 v11, 0
	;; [unrolled: 1-line block ×6, first 2 shown]
	s_waitcnt lgkmcnt(0)
	v_xor_b32_e32 v16, 0x80000000, v16
	ds_write_b64 v45, v[15:16] offset:712
.LBB0_16:
	s_or_b32 exec_lo, exec_lo, s0
	s_waitcnt lgkmcnt(0)
	v_lshlrev_b64 v[4:5], 4, v[12:13]
	s_add_u32 s0, s8, 0x4d0
	s_addc_u32 s1, s9, 0
	v_add_co_u32 v12, s0, s0, v4
	v_add_co_ci_u32_e64 v13, s0, s1, v5, s0
	s_clause 0x1
	global_load_dwordx4 v[15:18], v[12:13], off offset:176
	global_load_dwordx4 v[19:22], v[12:13], off offset:352
	ds_write2_b64 v60, v[8:9], v[10:11] offset1:1
	ds_write_b128 v14, v[0:3] offset:1408
	ds_read_b128 v[0:3], v60 offset:176
	ds_read_b128 v[6:9], v14 offset:1232
	global_load_dwordx4 v[10:13], v[12:13], off offset:528
	s_waitcnt lgkmcnt(0)
	v_add_f64 v[23:24], v[0:1], -v[6:7]
	v_add_f64 v[25:26], v[2:3], v[8:9]
	v_add_f64 v[2:3], v[2:3], -v[8:9]
	v_add_f64 v[0:1], v[0:1], v[6:7]
	v_mul_f64 v[8:9], v[23:24], 0.5
	v_mul_f64 v[23:24], v[25:26], 0.5
	;; [unrolled: 1-line block ×3, first 2 shown]
	s_waitcnt vmcnt(2)
	v_mul_f64 v[6:7], v[8:9], v[17:18]
	v_fma_f64 v[25:26], v[23:24], v[17:18], v[2:3]
	v_fma_f64 v[2:3], v[23:24], v[17:18], -v[2:3]
	v_fma_f64 v[17:18], v[0:1], 0.5, v[6:7]
	v_fma_f64 v[0:1], v[0:1], 0.5, -v[6:7]
	v_fma_f64 v[6:7], -v[15:16], v[8:9], v[25:26]
	v_fma_f64 v[2:3], -v[15:16], v[8:9], v[2:3]
	v_fma_f64 v[8:9], v[23:24], v[15:16], v[17:18]
	v_fma_f64 v[0:1], -v[23:24], v[15:16], v[0:1]
	ds_write2_b64 v60, v[8:9], v[6:7] offset0:22 offset1:23
	ds_write_b128 v14, v[0:3] offset:1232
	ds_read_b128 v[0:3], v60 offset:352
	ds_read_b128 v[6:9], v14 offset:1056
	s_waitcnt lgkmcnt(0)
	v_add_f64 v[15:16], v[0:1], -v[6:7]
	v_add_f64 v[17:18], v[2:3], v[8:9]
	v_add_f64 v[2:3], v[2:3], -v[8:9]
	v_add_f64 v[0:1], v[0:1], v[6:7]
	v_mul_f64 v[8:9], v[15:16], 0.5
	v_mul_f64 v[15:16], v[17:18], 0.5
	v_mul_f64 v[2:3], v[2:3], 0.5
	s_waitcnt vmcnt(1)
	v_mul_f64 v[6:7], v[8:9], v[21:22]
	v_fma_f64 v[17:18], v[15:16], v[21:22], v[2:3]
	v_fma_f64 v[2:3], v[15:16], v[21:22], -v[2:3]
	v_fma_f64 v[21:22], v[0:1], 0.5, v[6:7]
	v_fma_f64 v[0:1], v[0:1], 0.5, -v[6:7]
	v_fma_f64 v[6:7], -v[19:20], v[8:9], v[17:18]
	v_fma_f64 v[2:3], -v[19:20], v[8:9], v[2:3]
	v_fma_f64 v[8:9], v[15:16], v[19:20], v[21:22]
	v_fma_f64 v[0:1], -v[15:16], v[19:20], v[0:1]
	ds_write2_b64 v60, v[8:9], v[6:7] offset0:44 offset1:45
	ds_write_b128 v14, v[0:3] offset:1056
	ds_read_b128 v[0:3], v60 offset:528
	ds_read_b128 v[6:9], v14 offset:880
	s_waitcnt lgkmcnt(0)
	v_add_f64 v[15:16], v[0:1], -v[6:7]
	v_add_f64 v[17:18], v[2:3], v[8:9]
	v_add_f64 v[2:3], v[2:3], -v[8:9]
	v_add_f64 v[0:1], v[0:1], v[6:7]
	v_mul_f64 v[8:9], v[15:16], 0.5
	v_mul_f64 v[15:16], v[17:18], 0.5
	v_mul_f64 v[2:3], v[2:3], 0.5
	s_waitcnt vmcnt(0)
	v_mul_f64 v[6:7], v[8:9], v[12:13]
	v_fma_f64 v[17:18], v[15:16], v[12:13], v[2:3]
	v_fma_f64 v[2:3], v[15:16], v[12:13], -v[2:3]
	v_fma_f64 v[12:13], v[0:1], 0.5, v[6:7]
	v_fma_f64 v[0:1], v[0:1], 0.5, -v[6:7]
	v_fma_f64 v[6:7], -v[10:11], v[8:9], v[17:18]
	v_fma_f64 v[2:3], -v[10:11], v[8:9], v[2:3]
	v_fma_f64 v[8:9], v[15:16], v[10:11], v[12:13]
	v_fma_f64 v[0:1], -v[15:16], v[10:11], v[0:1]
	ds_write2_b64 v60, v[8:9], v[6:7] offset0:66 offset1:67
	ds_write_b128 v14, v[0:3] offset:880
	s_waitcnt lgkmcnt(0)
	s_barrier
	buffer_gl0_inv
	s_and_saveexec_b32 s0, vcc_lo
	s_cbranch_execz .LBB0_19
; %bb.17:
	ds_read_b128 v[6:9], v60
	ds_read_b128 v[10:13], v60 offset:176
	ds_read_b128 v[14:17], v60 offset:352
	ds_read_b128 v[18:21], v60 offset:528
	ds_read_b128 v[22:25], v60 offset:704
	ds_read_b128 v[26:29], v60 offset:880
	ds_read_b128 v[30:33], v60 offset:1056
	ds_read_b128 v[34:37], v60 offset:1232
	v_add_co_u32 v0, vcc_lo, s2, v46
	v_add_co_ci_u32_e32 v1, vcc_lo, s3, v47, vcc_lo
	v_add_co_u32 v2, vcc_lo, v0, v4
	v_add_co_ci_u32_e32 v3, vcc_lo, v1, v5, vcc_lo
	v_cmp_eq_u32_e32 vcc_lo, 10, v44
	s_waitcnt lgkmcnt(7)
	global_store_dwordx4 v[2:3], v[6:9], off
	s_waitcnt lgkmcnt(6)
	global_store_dwordx4 v[2:3], v[10:13], off offset:176
	s_waitcnt lgkmcnt(5)
	global_store_dwordx4 v[2:3], v[14:17], off offset:352
	;; [unrolled: 2-line block ×7, first 2 shown]
	s_and_b32 exec_lo, exec_lo, vcc_lo
	s_cbranch_execz .LBB0_19
; %bb.18:
	ds_read_b128 v[2:5], v60 offset:1248
	s_waitcnt lgkmcnt(0)
	global_store_dwordx4 v[0:1], v[2:5], off offset:1408
.LBB0_19:
	s_endpgm
	.section	.rodata,"a",@progbits
	.p2align	6, 0x0
	.amdhsa_kernel fft_rtc_fwd_len88_factors_11_8_wgs_121_tpt_11_halfLds_dp_ip_CI_unitstride_sbrr_R2C_dirReg
		.amdhsa_group_segment_fixed_size 0
		.amdhsa_private_segment_fixed_size 0
		.amdhsa_kernarg_size 88
		.amdhsa_user_sgpr_count 6
		.amdhsa_user_sgpr_private_segment_buffer 1
		.amdhsa_user_sgpr_dispatch_ptr 0
		.amdhsa_user_sgpr_queue_ptr 0
		.amdhsa_user_sgpr_kernarg_segment_ptr 1
		.amdhsa_user_sgpr_dispatch_id 0
		.amdhsa_user_sgpr_flat_scratch_init 0
		.amdhsa_user_sgpr_private_segment_size 0
		.amdhsa_wavefront_size32 1
		.amdhsa_uses_dynamic_stack 0
		.amdhsa_system_sgpr_private_segment_wavefront_offset 0
		.amdhsa_system_sgpr_workgroup_id_x 1
		.amdhsa_system_sgpr_workgroup_id_y 0
		.amdhsa_system_sgpr_workgroup_id_z 0
		.amdhsa_system_sgpr_workgroup_info 0
		.amdhsa_system_vgpr_workitem_id 0
		.amdhsa_next_free_vgpr 129
		.amdhsa_next_free_sgpr 36
		.amdhsa_reserve_vcc 1
		.amdhsa_reserve_flat_scratch 0
		.amdhsa_float_round_mode_32 0
		.amdhsa_float_round_mode_16_64 0
		.amdhsa_float_denorm_mode_32 3
		.amdhsa_float_denorm_mode_16_64 3
		.amdhsa_dx10_clamp 1
		.amdhsa_ieee_mode 1
		.amdhsa_fp16_overflow 0
		.amdhsa_workgroup_processor_mode 1
		.amdhsa_memory_ordered 1
		.amdhsa_forward_progress 0
		.amdhsa_shared_vgpr_count 0
		.amdhsa_exception_fp_ieee_invalid_op 0
		.amdhsa_exception_fp_denorm_src 0
		.amdhsa_exception_fp_ieee_div_zero 0
		.amdhsa_exception_fp_ieee_overflow 0
		.amdhsa_exception_fp_ieee_underflow 0
		.amdhsa_exception_fp_ieee_inexact 0
		.amdhsa_exception_int_div_zero 0
	.end_amdhsa_kernel
	.text
.Lfunc_end0:
	.size	fft_rtc_fwd_len88_factors_11_8_wgs_121_tpt_11_halfLds_dp_ip_CI_unitstride_sbrr_R2C_dirReg, .Lfunc_end0-fft_rtc_fwd_len88_factors_11_8_wgs_121_tpt_11_halfLds_dp_ip_CI_unitstride_sbrr_R2C_dirReg
                                        ; -- End function
	.section	.AMDGPU.csdata,"",@progbits
; Kernel info:
; codeLenInByte = 6260
; NumSgprs: 38
; NumVgprs: 129
; ScratchSize: 0
; MemoryBound: 0
; FloatMode: 240
; IeeeMode: 1
; LDSByteSize: 0 bytes/workgroup (compile time only)
; SGPRBlocks: 4
; VGPRBlocks: 16
; NumSGPRsForWavesPerEU: 38
; NumVGPRsForWavesPerEU: 129
; Occupancy: 7
; WaveLimiterHint : 1
; COMPUTE_PGM_RSRC2:SCRATCH_EN: 0
; COMPUTE_PGM_RSRC2:USER_SGPR: 6
; COMPUTE_PGM_RSRC2:TRAP_HANDLER: 0
; COMPUTE_PGM_RSRC2:TGID_X_EN: 1
; COMPUTE_PGM_RSRC2:TGID_Y_EN: 0
; COMPUTE_PGM_RSRC2:TGID_Z_EN: 0
; COMPUTE_PGM_RSRC2:TIDIG_COMP_CNT: 0
	.text
	.p2alignl 6, 3214868480
	.fill 48, 4, 3214868480
	.type	__hip_cuid_8ca243965c6d9ac0,@object ; @__hip_cuid_8ca243965c6d9ac0
	.section	.bss,"aw",@nobits
	.globl	__hip_cuid_8ca243965c6d9ac0
__hip_cuid_8ca243965c6d9ac0:
	.byte	0                               ; 0x0
	.size	__hip_cuid_8ca243965c6d9ac0, 1

	.ident	"AMD clang version 19.0.0git (https://github.com/RadeonOpenCompute/llvm-project roc-6.4.0 25133 c7fe45cf4b819c5991fe208aaa96edf142730f1d)"
	.section	".note.GNU-stack","",@progbits
	.addrsig
	.addrsig_sym __hip_cuid_8ca243965c6d9ac0
	.amdgpu_metadata
---
amdhsa.kernels:
  - .args:
      - .actual_access:  read_only
        .address_space:  global
        .offset:         0
        .size:           8
        .value_kind:     global_buffer
      - .offset:         8
        .size:           8
        .value_kind:     by_value
      - .actual_access:  read_only
        .address_space:  global
        .offset:         16
        .size:           8
        .value_kind:     global_buffer
      - .actual_access:  read_only
        .address_space:  global
        .offset:         24
        .size:           8
        .value_kind:     global_buffer
      - .offset:         32
        .size:           8
        .value_kind:     by_value
      - .actual_access:  read_only
        .address_space:  global
        .offset:         40
        .size:           8
        .value_kind:     global_buffer
      - .actual_access:  read_only
        .address_space:  global
        .offset:         48
        .size:           8
        .value_kind:     global_buffer
      - .offset:         56
        .size:           4
        .value_kind:     by_value
      - .actual_access:  read_only
        .address_space:  global
        .offset:         64
        .size:           8
        .value_kind:     global_buffer
      - .actual_access:  read_only
        .address_space:  global
        .offset:         72
        .size:           8
        .value_kind:     global_buffer
      - .address_space:  global
        .offset:         80
        .size:           8
        .value_kind:     global_buffer
    .group_segment_fixed_size: 0
    .kernarg_segment_align: 8
    .kernarg_segment_size: 88
    .language:       OpenCL C
    .language_version:
      - 2
      - 0
    .max_flat_workgroup_size: 121
    .name:           fft_rtc_fwd_len88_factors_11_8_wgs_121_tpt_11_halfLds_dp_ip_CI_unitstride_sbrr_R2C_dirReg
    .private_segment_fixed_size: 0
    .sgpr_count:     38
    .sgpr_spill_count: 0
    .symbol:         fft_rtc_fwd_len88_factors_11_8_wgs_121_tpt_11_halfLds_dp_ip_CI_unitstride_sbrr_R2C_dirReg.kd
    .uniform_work_group_size: 1
    .uses_dynamic_stack: false
    .vgpr_count:     129
    .vgpr_spill_count: 0
    .wavefront_size: 32
    .workgroup_processor_mode: 1
amdhsa.target:   amdgcn-amd-amdhsa--gfx1030
amdhsa.version:
  - 1
  - 2
...

	.end_amdgpu_metadata
